;; amdgpu-corpus repo=ROCm/rocFFT kind=compiled arch=gfx906 opt=O3
	.text
	.amdgcn_target "amdgcn-amd-amdhsa--gfx906"
	.amdhsa_code_object_version 6
	.protected	fft_rtc_back_len4096_factors_16_16_16_wgs_256_tpt_256_halfLds_dp_op_CI_CI_sbrr_dirReg ; -- Begin function fft_rtc_back_len4096_factors_16_16_16_wgs_256_tpt_256_halfLds_dp_op_CI_CI_sbrr_dirReg
	.globl	fft_rtc_back_len4096_factors_16_16_16_wgs_256_tpt_256_halfLds_dp_op_CI_CI_sbrr_dirReg
	.p2align	8
	.type	fft_rtc_back_len4096_factors_16_16_16_wgs_256_tpt_256_halfLds_dp_op_CI_CI_sbrr_dirReg,@function
fft_rtc_back_len4096_factors_16_16_16_wgs_256_tpt_256_halfLds_dp_op_CI_CI_sbrr_dirReg: ; @fft_rtc_back_len4096_factors_16_16_16_wgs_256_tpt_256_halfLds_dp_op_CI_CI_sbrr_dirReg
; %bb.0:
	s_load_dwordx4 s[16:19], s[4:5], 0x18
	s_load_dwordx4 s[12:15], s[4:5], 0x0
	;; [unrolled: 1-line block ×3, first 2 shown]
	v_mov_b32_e32 v3, 0
	v_mov_b32_e32 v1, 0
	s_waitcnt lgkmcnt(0)
	s_load_dwordx2 s[20:21], s[16:17], 0x0
	s_load_dwordx2 s[2:3], s[18:19], 0x0
	v_cmp_lt_u64_e64 s[0:1], s[14:15], 2
	v_mov_b32_e32 v5, s6
	v_mov_b32_e32 v6, v3
	s_and_b64 vcc, exec, s[0:1]
	v_mov_b32_e32 v2, 0
	s_cbranch_vccnz .LBB0_8
; %bb.1:
	s_load_dwordx2 s[0:1], s[4:5], 0x10
	s_add_u32 s6, s18, 8
	s_addc_u32 s7, s19, 0
	s_add_u32 s22, s16, 8
	v_mov_b32_e32 v1, 0
	s_addc_u32 s23, s17, 0
	v_mov_b32_e32 v2, 0
	s_waitcnt lgkmcnt(0)
	s_add_u32 s24, s0, 8
	v_mov_b32_e32 v66, v2
	s_addc_u32 s25, s1, 0
	s_mov_b64 s[26:27], 1
	v_mov_b32_e32 v65, v1
.LBB0_2:                                ; =>This Inner Loop Header: Depth=1
	s_load_dwordx2 s[28:29], s[24:25], 0x0
                                        ; implicit-def: $vgpr67_vgpr68
	s_waitcnt lgkmcnt(0)
	v_or_b32_e32 v4, s29, v6
	v_cmp_ne_u64_e32 vcc, 0, v[3:4]
	s_and_saveexec_b64 s[0:1], vcc
	s_xor_b64 s[30:31], exec, s[0:1]
	s_cbranch_execz .LBB0_4
; %bb.3:                                ;   in Loop: Header=BB0_2 Depth=1
	v_cvt_f32_u32_e32 v4, s28
	v_cvt_f32_u32_e32 v7, s29
	s_sub_u32 s0, 0, s28
	s_subb_u32 s1, 0, s29
	v_mac_f32_e32 v4, 0x4f800000, v7
	v_rcp_f32_e32 v4, v4
	v_mul_f32_e32 v4, 0x5f7ffffc, v4
	v_mul_f32_e32 v7, 0x2f800000, v4
	v_trunc_f32_e32 v7, v7
	v_mac_f32_e32 v4, 0xcf800000, v7
	v_cvt_u32_f32_e32 v7, v7
	v_cvt_u32_f32_e32 v4, v4
	v_mul_lo_u32 v8, s0, v7
	v_mul_hi_u32 v9, s0, v4
	v_mul_lo_u32 v11, s1, v4
	v_mul_lo_u32 v10, s0, v4
	v_add_u32_e32 v8, v9, v8
	v_add_u32_e32 v8, v8, v11
	v_mul_hi_u32 v9, v4, v10
	v_mul_lo_u32 v11, v4, v8
	v_mul_hi_u32 v13, v4, v8
	v_mul_hi_u32 v12, v7, v10
	v_mul_lo_u32 v10, v7, v10
	v_mul_hi_u32 v14, v7, v8
	v_add_co_u32_e32 v9, vcc, v9, v11
	v_addc_co_u32_e32 v11, vcc, 0, v13, vcc
	v_mul_lo_u32 v8, v7, v8
	v_add_co_u32_e32 v9, vcc, v9, v10
	v_addc_co_u32_e32 v9, vcc, v11, v12, vcc
	v_addc_co_u32_e32 v10, vcc, 0, v14, vcc
	v_add_co_u32_e32 v8, vcc, v9, v8
	v_addc_co_u32_e32 v9, vcc, 0, v10, vcc
	v_add_co_u32_e32 v4, vcc, v4, v8
	v_addc_co_u32_e32 v7, vcc, v7, v9, vcc
	v_mul_lo_u32 v8, s0, v7
	v_mul_hi_u32 v9, s0, v4
	v_mul_lo_u32 v10, s1, v4
	v_mul_lo_u32 v11, s0, v4
	v_add_u32_e32 v8, v9, v8
	v_add_u32_e32 v8, v8, v10
	v_mul_lo_u32 v12, v4, v8
	v_mul_hi_u32 v13, v4, v11
	v_mul_hi_u32 v14, v4, v8
	;; [unrolled: 1-line block ×3, first 2 shown]
	v_mul_lo_u32 v11, v7, v11
	v_mul_hi_u32 v9, v7, v8
	v_add_co_u32_e32 v12, vcc, v13, v12
	v_addc_co_u32_e32 v13, vcc, 0, v14, vcc
	v_mul_lo_u32 v8, v7, v8
	v_add_co_u32_e32 v11, vcc, v12, v11
	v_addc_co_u32_e32 v10, vcc, v13, v10, vcc
	v_addc_co_u32_e32 v9, vcc, 0, v9, vcc
	v_add_co_u32_e32 v8, vcc, v10, v8
	v_addc_co_u32_e32 v9, vcc, 0, v9, vcc
	v_add_co_u32_e32 v4, vcc, v4, v8
	v_addc_co_u32_e32 v9, vcc, v7, v9, vcc
	v_mad_u64_u32 v[7:8], s[0:1], v5, v9, 0
	v_mul_hi_u32 v10, v5, v4
	v_add_co_u32_e32 v11, vcc, v10, v7
	v_addc_co_u32_e32 v12, vcc, 0, v8, vcc
	v_mad_u64_u32 v[7:8], s[0:1], v6, v4, 0
	v_mad_u64_u32 v[9:10], s[0:1], v6, v9, 0
	v_add_co_u32_e32 v4, vcc, v11, v7
	v_addc_co_u32_e32 v4, vcc, v12, v8, vcc
	v_addc_co_u32_e32 v7, vcc, 0, v10, vcc
	v_add_co_u32_e32 v4, vcc, v4, v9
	v_addc_co_u32_e32 v9, vcc, 0, v7, vcc
	v_mul_lo_u32 v10, s29, v4
	v_mul_lo_u32 v11, s28, v9
	v_mad_u64_u32 v[7:8], s[0:1], s28, v4, 0
	v_add3_u32 v8, v8, v11, v10
	v_sub_u32_e32 v10, v6, v8
	v_mov_b32_e32 v11, s29
	v_sub_co_u32_e32 v7, vcc, v5, v7
	v_subb_co_u32_e64 v10, s[0:1], v10, v11, vcc
	v_subrev_co_u32_e64 v11, s[0:1], s28, v7
	v_subbrev_co_u32_e64 v10, s[0:1], 0, v10, s[0:1]
	v_cmp_le_u32_e64 s[0:1], s29, v10
	v_cndmask_b32_e64 v12, 0, -1, s[0:1]
	v_cmp_le_u32_e64 s[0:1], s28, v11
	v_cndmask_b32_e64 v11, 0, -1, s[0:1]
	v_cmp_eq_u32_e64 s[0:1], s29, v10
	v_cndmask_b32_e64 v10, v12, v11, s[0:1]
	v_add_co_u32_e64 v11, s[0:1], 2, v4
	v_addc_co_u32_e64 v12, s[0:1], 0, v9, s[0:1]
	v_add_co_u32_e64 v13, s[0:1], 1, v4
	v_addc_co_u32_e64 v14, s[0:1], 0, v9, s[0:1]
	v_subb_co_u32_e32 v8, vcc, v6, v8, vcc
	v_cmp_ne_u32_e64 s[0:1], 0, v10
	v_cmp_le_u32_e32 vcc, s29, v8
	v_cndmask_b32_e64 v10, v14, v12, s[0:1]
	v_cndmask_b32_e64 v12, 0, -1, vcc
	v_cmp_le_u32_e32 vcc, s28, v7
	v_cndmask_b32_e64 v7, 0, -1, vcc
	v_cmp_eq_u32_e32 vcc, s29, v8
	v_cndmask_b32_e32 v7, v12, v7, vcc
	v_cmp_ne_u32_e32 vcc, 0, v7
	v_cndmask_b32_e64 v7, v13, v11, s[0:1]
	v_cndmask_b32_e32 v68, v9, v10, vcc
	v_cndmask_b32_e32 v67, v4, v7, vcc
.LBB0_4:                                ;   in Loop: Header=BB0_2 Depth=1
	s_andn2_saveexec_b64 s[0:1], s[30:31]
	s_cbranch_execz .LBB0_6
; %bb.5:                                ;   in Loop: Header=BB0_2 Depth=1
	v_cvt_f32_u32_e32 v4, s28
	s_sub_i32 s30, 0, s28
	v_mov_b32_e32 v68, v3
	v_rcp_iflag_f32_e32 v4, v4
	v_mul_f32_e32 v4, 0x4f7ffffe, v4
	v_cvt_u32_f32_e32 v4, v4
	v_mul_lo_u32 v7, s30, v4
	v_mul_hi_u32 v7, v4, v7
	v_add_u32_e32 v4, v4, v7
	v_mul_hi_u32 v4, v5, v4
	v_mul_lo_u32 v7, v4, s28
	v_add_u32_e32 v8, 1, v4
	v_sub_u32_e32 v7, v5, v7
	v_subrev_u32_e32 v9, s28, v7
	v_cmp_le_u32_e32 vcc, s28, v7
	v_cndmask_b32_e32 v7, v7, v9, vcc
	v_cndmask_b32_e32 v4, v4, v8, vcc
	v_add_u32_e32 v8, 1, v4
	v_cmp_le_u32_e32 vcc, s28, v7
	v_cndmask_b32_e32 v67, v4, v8, vcc
.LBB0_6:                                ;   in Loop: Header=BB0_2 Depth=1
	s_or_b64 exec, exec, s[0:1]
	v_mul_lo_u32 v4, v68, s28
	v_mul_lo_u32 v9, v67, s29
	v_mad_u64_u32 v[7:8], s[0:1], v67, s28, 0
	s_load_dwordx2 s[0:1], s[22:23], 0x0
	s_load_dwordx2 s[28:29], s[6:7], 0x0
	v_add3_u32 v4, v8, v9, v4
	v_sub_co_u32_e32 v5, vcc, v5, v7
	v_subb_co_u32_e32 v4, vcc, v6, v4, vcc
	s_waitcnt lgkmcnt(0)
	v_mul_lo_u32 v6, s0, v4
	v_mul_lo_u32 v7, s1, v5
	v_mad_u64_u32 v[1:2], s[0:1], s0, v5, v[1:2]
	v_mul_lo_u32 v4, s28, v4
	v_mul_lo_u32 v8, s29, v5
	v_mad_u64_u32 v[65:66], s[0:1], s28, v5, v[65:66]
	s_add_u32 s26, s26, 1
	s_addc_u32 s27, s27, 0
	s_add_u32 s6, s6, 8
	v_add3_u32 v66, v8, v66, v4
	s_addc_u32 s7, s7, 0
	v_mov_b32_e32 v4, s14
	s_add_u32 s22, s22, 8
	v_mov_b32_e32 v5, s15
	s_addc_u32 s23, s23, 0
	v_cmp_ge_u64_e32 vcc, s[26:27], v[4:5]
	s_add_u32 s24, s24, 8
	v_add3_u32 v2, v7, v2, v6
	s_addc_u32 s25, s25, 0
	s_cbranch_vccnz .LBB0_9
; %bb.7:                                ;   in Loop: Header=BB0_2 Depth=1
	v_mov_b32_e32 v5, v67
	v_mov_b32_e32 v6, v68
	s_branch .LBB0_2
.LBB0_8:
	v_mov_b32_e32 v66, v2
	v_mov_b32_e32 v68, v6
	;; [unrolled: 1-line block ×4, first 2 shown]
.LBB0_9:
	s_load_dwordx2 s[0:1], s[4:5], 0x28
	s_lshl_b64 s[6:7], s[14:15], 3
	s_add_u32 s18, s18, s6
	s_addc_u32 s19, s19, s7
                                        ; implicit-def: $sgpr14
	s_waitcnt lgkmcnt(0)
	v_cmp_gt_u64_e32 vcc, s[0:1], v[67:68]
	v_cmp_le_u64_e64 s[0:1], s[0:1], v[67:68]
	s_and_saveexec_b64 s[4:5], s[0:1]
	s_xor_b64 s[0:1], exec, s[4:5]
; %bb.10:
	s_mov_b32 s14, 0
                                        ; implicit-def: $vgpr1_vgpr2
; %bb.11:
	s_or_saveexec_b64 s[4:5], s[0:1]
	v_mov_b32_e32 v69, s14
                                        ; implicit-def: $vgpr3_vgpr4
                                        ; implicit-def: $vgpr19_vgpr20
                                        ; implicit-def: $vgpr7_vgpr8
                                        ; implicit-def: $vgpr27_vgpr28
                                        ; implicit-def: $vgpr15_vgpr16
                                        ; implicit-def: $vgpr11_vgpr12
                                        ; implicit-def: $vgpr59_vgpr60
                                        ; implicit-def: $vgpr51_vgpr52
                                        ; implicit-def: $vgpr23_vgpr24
                                        ; implicit-def: $vgpr63_vgpr64
                                        ; implicit-def: $vgpr31_vgpr32
                                        ; implicit-def: $vgpr55_vgpr56
                                        ; implicit-def: $vgpr47_vgpr48
                                        ; implicit-def: $vgpr39_vgpr40
                                        ; implicit-def: $vgpr35_vgpr36
                                        ; implicit-def: $vgpr43_vgpr44
	s_xor_b64 exec, exec, s[4:5]
	s_cbranch_execz .LBB0_13
; %bb.12:
	s_add_u32 s0, s16, s6
	s_addc_u32 s1, s17, s7
	s_load_dwordx2 s[0:1], s[0:1], 0x0
	v_mad_u64_u32 v[3:4], s[6:7], s20, v0, 0
	v_lshlrev_b64 v[1:2], 4, v[1:2]
	s_waitcnt lgkmcnt(0)
	v_mul_lo_u32 v9, s1, v67
	v_mul_lo_u32 v10, s0, v68
	v_mad_u64_u32 v[5:6], s[0:1], s0, v67, 0
	v_mad_u64_u32 v[7:8], s[0:1], s21, v0, v[4:5]
	v_add3_u32 v6, v6, v10, v9
	v_lshlrev_b64 v[5:6], 4, v[5:6]
	v_mov_b32_e32 v4, v7
	v_mov_b32_e32 v7, s9
	v_add_co_u32_e64 v8, s[0:1], s8, v5
	v_or_b32_e32 v9, 0x100, v0
	v_addc_co_u32_e64 v7, s[0:1], v7, v6, s[0:1]
	v_mad_u64_u32 v[5:6], s[0:1], s20, v9, 0
	v_add_co_u32_e64 v10, s[0:1], v8, v1
	v_addc_co_u32_e64 v11, s[0:1], v7, v2, s[0:1]
	v_lshlrev_b64 v[1:2], 4, v[3:4]
	v_mov_b32_e32 v3, v6
	v_mad_u64_u32 v[3:4], s[0:1], s21, v9, v[3:4]
	v_or_b32_e32 v4, 0x200, v0
	v_mad_u64_u32 v[7:8], s[0:1], s20, v4, 0
	v_add_co_u32_e64 v45, s[0:1], v10, v1
	v_mov_b32_e32 v6, v3
	v_mov_b32_e32 v3, v8
	v_addc_co_u32_e64 v46, s[0:1], v11, v2, s[0:1]
	v_lshlrev_b64 v[1:2], 4, v[5:6]
	v_mad_u64_u32 v[3:4], s[0:1], s21, v4, v[3:4]
	v_or_b32_e32 v6, 0x300, v0
	v_mad_u64_u32 v[4:5], s[0:1], s20, v6, 0
	v_add_co_u32_e64 v47, s[0:1], v10, v1
	v_mov_b32_e32 v8, v3
	v_mov_b32_e32 v3, v5
	v_addc_co_u32_e64 v48, s[0:1], v11, v2, s[0:1]
	v_lshlrev_b64 v[1:2], 4, v[7:8]
	v_mad_u64_u32 v[5:6], s[0:1], s21, v6, v[3:4]
	v_or_b32_e32 v8, 0x400, v0
	v_mad_u64_u32 v[6:7], s[0:1], s20, v8, 0
	v_add_co_u32_e64 v69, s[0:1], v10, v1
	v_mov_b32_e32 v3, v7
	v_addc_co_u32_e64 v70, s[0:1], v11, v2, s[0:1]
	v_lshlrev_b64 v[1:2], 4, v[4:5]
	v_mad_u64_u32 v[3:4], s[0:1], s21, v8, v[3:4]
	v_or_b32_e32 v8, 0x500, v0
	v_mad_u64_u32 v[4:5], s[0:1], s20, v8, 0
	v_add_co_u32_e64 v71, s[0:1], v10, v1
	v_mov_b32_e32 v7, v3
	v_mov_b32_e32 v3, v5
	v_addc_co_u32_e64 v72, s[0:1], v11, v2, s[0:1]
	v_lshlrev_b64 v[1:2], 4, v[6:7]
	v_mad_u64_u32 v[5:6], s[0:1], s21, v8, v[3:4]
	v_or_b32_e32 v8, 0x600, v0
	v_mad_u64_u32 v[6:7], s[0:1], s20, v8, 0
	v_add_co_u32_e64 v73, s[0:1], v10, v1
	;; [unrolled: 15-line block ×6, first 2 shown]
	v_mov_b32_e32 v3, v7
	v_addc_co_u32_e64 v90, s[0:1], v11, v2, s[0:1]
	v_lshlrev_b64 v[1:2], 4, v[4:5]
	v_mad_u64_u32 v[3:4], s[0:1], s21, v8, v[3:4]
	v_or_b32_e32 v8, 0xf00, v0
	v_mad_u64_u32 v[4:5], s[0:1], s20, v8, 0
	v_add_co_u32_e64 v91, s[0:1], v10, v1
	v_mov_b32_e32 v7, v3
	v_mov_b32_e32 v3, v5
	v_addc_co_u32_e64 v92, s[0:1], v11, v2, s[0:1]
	v_lshlrev_b64 v[1:2], 4, v[6:7]
	v_mad_u64_u32 v[5:6], s[0:1], s21, v8, v[3:4]
	v_add_co_u32_e64 v93, s[0:1], v10, v1
	v_addc_co_u32_e64 v94, s[0:1], v11, v2, s[0:1]
	v_lshlrev_b64 v[1:2], 4, v[4:5]
	v_add_co_u32_e64 v95, s[0:1], v10, v1
	v_addc_co_u32_e64 v96, s[0:1], v11, v2, s[0:1]
	global_load_dwordx4 v[41:44], v[45:46], off
	global_load_dwordx4 v[1:4], v[47:48], off
	;; [unrolled: 1-line block ×15, first 2 shown]
                                        ; kill: killed $vgpr89 killed $vgpr90
                                        ; kill: killed $vgpr73 killed $vgpr74
                                        ; kill: killed $vgpr91 killed $vgpr92
                                        ; kill: killed $vgpr75 killed $vgpr76
                                        ; kill: killed $vgpr93 killed $vgpr94
                                        ; kill: killed $vgpr77 killed $vgpr78
                                        ; kill: killed $vgpr79 killed $vgpr80
                                        ; kill: killed $vgpr81 killed $vgpr82
                                        ; kill: killed $vgpr45 killed $vgpr46
                                        ; kill: killed $vgpr83 killed $vgpr84
                                        ; kill: killed $vgpr47 killed $vgpr48
                                        ; kill: killed $vgpr85 killed $vgpr86
                                        ; kill: killed $vgpr69 killed $vgpr70
                                        ; kill: killed $vgpr87 killed $vgpr88
                                        ; kill: killed $vgpr71 killed $vgpr72
	global_load_dwordx4 v[45:48], v[95:96], off
	v_mov_b32_e32 v69, v0
.LBB0_13:
	s_or_b64 exec, exec, s[4:5]
	s_waitcnt vmcnt(7)
	v_add_f64 v[57:58], v[41:42], -v[57:58]
	v_add_f64 v[59:60], v[43:44], -v[59:60]
	s_waitcnt vmcnt(3)
	v_add_f64 v[61:62], v[25:26], -v[61:62]
	v_add_f64 v[63:64], v[27:28], -v[63:64]
	v_add_f64 v[49:50], v[17:18], -v[49:50]
	v_add_f64 v[51:52], v[19:20], -v[51:52]
	s_waitcnt vmcnt(1)
	v_add_f64 v[53:54], v[33:34], -v[53:54]
	v_add_f64 v[55:56], v[35:36], -v[55:56]
	v_fma_f64 v[41:42], v[41:42], 2.0, -v[57:58]
	v_fma_f64 v[43:44], v[43:44], 2.0, -v[59:60]
	;; [unrolled: 1-line block ×8, first 2 shown]
	v_add_f64 v[37:38], v[1:2], -v[37:38]
	v_add_f64 v[39:40], v[3:4], -v[39:40]
	;; [unrolled: 1-line block ×6, first 2 shown]
	s_waitcnt vmcnt(0)
	v_add_f64 v[45:46], v[9:10], -v[45:46]
	v_add_f64 v[47:48], v[11:12], -v[47:48]
	;; [unrolled: 1-line block ×4, first 2 shown]
	v_add_f64 v[63:64], v[63:64], v[57:58]
	v_add_f64 v[33:34], v[17:18], -v[33:34]
	v_add_f64 v[35:36], v[19:20], -v[35:36]
	v_add_f64 v[55:56], v[49:50], v[55:56]
	v_fma_f64 v[3:4], v[3:4], 2.0, -v[39:40]
	v_fma_f64 v[13:14], v[13:14], 2.0, -v[29:30]
	;; [unrolled: 1-line block ×6, first 2 shown]
	v_add_f64 v[61:62], v[59:60], -v[61:62]
	v_add_f64 v[53:54], v[51:52], -v[53:54]
	v_fma_f64 v[41:42], v[41:42], 2.0, -v[25:26]
	v_fma_f64 v[43:44], v[43:44], 2.0, -v[27:28]
	;; [unrolled: 1-line block ×6, first 2 shown]
	v_add_f64 v[31:32], v[31:32], v[37:38]
	v_add_f64 v[29:30], v[39:40], -v[29:30]
	v_add_f64 v[47:48], v[21:22], v[47:48]
	v_add_f64 v[45:46], v[23:24], -v[45:46]
	s_mov_b32 s4, 0x667f3bcd
	s_mov_b32 s5, 0xbfe6a09e
	;; [unrolled: 1-line block ×4, first 2 shown]
	v_fma_f64 v[1:2], v[1:2], 2.0, -v[37:38]
	v_fma_f64 v[5:6], v[5:6], 2.0, -v[21:22]
	;; [unrolled: 1-line block ×4, first 2 shown]
	v_add_f64 v[15:16], v[3:4], -v[15:16]
	v_add_f64 v[11:12], v[7:8], -v[11:12]
	v_fma_f64 v[37:38], v[37:38], 2.0, -v[31:32]
	v_fma_f64 v[39:40], v[39:40], 2.0, -v[29:30]
	;; [unrolled: 1-line block ×4, first 2 shown]
	v_fma_f64 v[70:71], v[49:50], s[4:5], v[57:58]
	v_add_f64 v[74:75], v[41:42], -v[17:18]
	v_add_f64 v[76:77], v[43:44], -v[19:20]
	v_fma_f64 v[17:18], v[55:56], s[0:1], v[63:64]
	v_fma_f64 v[19:20], v[53:54], s[0:1], v[61:62]
	v_add_f64 v[80:81], v[27:28], -v[33:34]
	v_add_f64 v[13:14], v[1:2], -v[13:14]
	;; [unrolled: 1-line block ×3, first 2 shown]
	v_fma_f64 v[3:4], v[3:4], 2.0, -v[15:16]
	v_fma_f64 v[7:8], v[7:8], 2.0, -v[11:12]
	v_fma_f64 v[72:73], v[51:52], s[4:5], v[59:60]
	v_fma_f64 v[70:71], v[51:52], s[0:1], v[70:71]
	v_add_f64 v[78:79], v[35:36], v[25:26]
	v_fma_f64 v[35:36], v[43:44], 2.0, -v[76:77]
	v_fma_f64 v[82:83], v[53:54], s[0:1], v[17:18]
	v_fma_f64 v[84:85], v[55:56], s[4:5], v[19:20]
	;; [unrolled: 1-line block ×3, first 2 shown]
	v_fma_f64 v[43:44], v[27:28], 2.0, -v[80:81]
	v_fma_f64 v[27:28], v[23:24], s[4:5], v[39:40]
	v_fma_f64 v[53:54], v[47:48], s[0:1], v[31:32]
	v_fma_f64 v[1:2], v[1:2], 2.0, -v[13:14]
	v_fma_f64 v[5:6], v[5:6], 2.0, -v[9:10]
	v_fma_f64 v[72:73], v[49:50], s[4:5], v[72:73]
	v_fma_f64 v[19:20], v[57:58], 2.0, -v[70:71]
	v_fma_f64 v[49:50], v[63:64], 2.0, -v[82:83]
	;; [unrolled: 1-line block ×3, first 2 shown]
	v_fma_f64 v[55:56], v[45:46], s[0:1], v[29:30]
	v_fma_f64 v[57:58], v[23:24], s[0:1], v[17:18]
	v_add_f64 v[61:62], v[3:4], -v[7:8]
	v_fma_f64 v[63:64], v[21:22], s[4:5], v[27:28]
	v_add_f64 v[86:87], v[11:12], v[13:14]
	v_fma_f64 v[53:54], v[45:46], s[0:1], v[53:54]
	v_add_f64 v[88:89], v[15:16], -v[9:10]
	v_fma_f64 v[33:34], v[41:42], 2.0, -v[74:75]
	v_fma_f64 v[41:42], v[59:60], 2.0, -v[72:73]
	;; [unrolled: 1-line block ×3, first 2 shown]
	v_add_f64 v[59:60], v[1:2], -v[5:6]
	v_fma_f64 v[45:46], v[47:48], s[4:5], v[55:56]
	v_fma_f64 v[5:6], v[37:38], 2.0, -v[57:58]
	v_fma_f64 v[9:10], v[3:4], 2.0, -v[61:62]
	;; [unrolled: 1-line block ×5, first 2 shown]
	s_mov_b32 s14, 0xcf328d46
	v_fma_f64 v[11:12], v[15:16], 2.0, -v[88:89]
	s_mov_b32 s15, 0xbfed906b
	s_mov_b32 s6, 0xa6aea964
	v_fma_f64 v[1:2], v[1:2], 2.0, -v[59:60]
	v_fma_f64 v[7:8], v[5:6], s[14:15], v[19:20]
	v_fma_f64 v[13:14], v[29:30], 2.0, -v[45:46]
	v_fma_f64 v[15:16], v[3:4], s[14:15], v[41:42]
	s_mov_b32 s7, 0x3fd87de2
	v_fma_f64 v[23:24], v[17:18], s[4:5], v[25:26]
	s_mov_b32 s9, 0xbfd87de2
	s_mov_b32 s8, s6
	v_fma_f64 v[27:28], v[21:22], s[8:9], v[49:50]
	v_fma_f64 v[29:30], v[11:12], s[4:5], v[43:44]
	v_add_f64 v[1:2], v[33:34], -v[1:2]
	v_fma_f64 v[3:4], v[3:4], s[6:7], v[7:8]
	v_fma_f64 v[7:8], v[5:6], s[8:9], v[15:16]
	v_add_f64 v[5:6], v[35:36], -v[9:10]
	v_fma_f64 v[9:10], v[11:12], s[0:1], v[23:24]
	v_fma_f64 v[23:24], v[13:14], s[8:9], v[51:52]
	s_mov_b32 s17, 0x3fed906b
	s_mov_b32 s16, s14
	v_fma_f64 v[11:12], v[13:14], s[16:17], v[27:28]
	v_fma_f64 v[17:18], v[17:18], s[4:5], v[29:30]
	;; [unrolled: 1-line block ×3, first 2 shown]
	v_fma_f64 v[13:14], v[33:34], 2.0, -v[1:2]
	v_fma_f64 v[15:16], v[19:20], 2.0, -v[3:4]
	v_fma_f64 v[19:20], v[21:22], s[14:15], v[23:24]
	v_fma_f64 v[33:34], v[86:87], s[0:1], v[78:79]
	;; [unrolled: 1-line block ×3, first 2 shown]
	v_fma_f64 v[23:24], v[41:42], 2.0, -v[7:8]
	v_fma_f64 v[40:41], v[63:64], s[6:7], v[72:73]
	v_fma_f64 v[27:28], v[49:50], 2.0, -v[11:12]
	v_fma_f64 v[47:48], v[88:89], s[0:1], v[80:81]
	v_fma_f64 v[49:50], v[45:46], s[16:17], v[84:85]
	;; [unrolled: 1-line block ×3, first 2 shown]
	v_add_f64 v[29:30], v[61:62], v[74:75]
	v_fma_f64 v[21:22], v[35:36], 2.0, -v[5:6]
	v_fma_f64 v[34:35], v[88:89], s[0:1], v[33:34]
	v_fma_f64 v[36:37], v[45:46], s[6:7], v[37:38]
	v_add_f64 v[38:39], v[76:77], -v[59:60]
	v_fma_f64 v[40:41], v[57:58], s[14:15], v[40:41]
	v_fma_f64 v[46:47], v[86:87], s[4:5], v[47:48]
	;; [unrolled: 1-line block ×3, first 2 shown]
	v_fma_f64 v[25:26], v[25:26], 2.0, -v[9:10]
	v_fma_f64 v[42:43], v[43:44], 2.0, -v[17:18]
	;; [unrolled: 1-line block ×11, first 2 shown]
	v_lshl_add_u32 v33, v0, 7, 0
	s_movk_i32 s20, 0xff88
	s_load_dwordx2 s[18:19], s[18:19], 0x0
	ds_write_b128 v33, v[13:16]
	ds_write_b128 v33, v[25:28] offset:16
	ds_write_b128 v33, v[50:53] offset:32
	ds_write_b128 v33, v[58:61] offset:48
	ds_write_b128 v33, v[1:4] offset:64
	ds_write_b128 v33, v[9:12] offset:80
	ds_write_b128 v33, v[29:32] offset:96
	ds_write_b128 v33, v[34:37] offset:112
	v_mad_i32_i24 v25, v0, s20, v33
	s_waitcnt lgkmcnt(0)
	s_barrier
	ds_read2st64_b64 v[1:4], v25 offset1:4
	ds_read2st64_b64 v[9:12], v25 offset0:8 offset1:12
	ds_read2st64_b64 v[13:16], v25 offset0:16 offset1:20
	ds_read2st64_b64 v[26:29], v25 offset0:24 offset1:28
	ds_read2st64_b64 v[34:37], v25 offset0:32 offset1:36
	ds_read2st64_b64 v[50:53], v25 offset0:40 offset1:44
	ds_read2st64_b64 v[58:61], v25 offset0:48 offset1:52
	ds_read2st64_b64 v[74:77], v25 offset0:56 offset1:60
	s_waitcnt lgkmcnt(0)
	s_barrier
	ds_write_b128 v33, v[21:24]
	ds_write_b128 v33, v[42:45] offset:16
	ds_write_b128 v33, v[54:57] offset:32
	;; [unrolled: 1-line block ×7, first 2 shown]
	v_and_b32_e32 v5, 15, v0
	v_mul_u32_u24_e32 v5, 15, v5
	v_lshlrev_b32_e32 v30, 4, v5
	s_waitcnt lgkmcnt(0)
	s_barrier
	global_load_dwordx4 v[5:8], v30, s[12:13] offset:16
	global_load_dwordx4 v[17:20], v30, s[12:13] offset:32
	global_load_dwordx4 v[21:24], v30, s[12:13] offset:48
	global_load_dwordx4 v[38:41], v30, s[12:13] offset:64
	global_load_dwordx4 v[42:45], v30, s[12:13] offset:80
	global_load_dwordx4 v[46:49], v30, s[12:13] offset:96
	global_load_dwordx4 v[54:57], v30, s[12:13] offset:112
	global_load_dwordx4 v[70:73], v30, s[12:13] offset:128
	global_load_dwordx4 v[78:81], v30, s[12:13] offset:144
	global_load_dwordx4 v[82:85], v30, s[12:13] offset:160
	global_load_dwordx4 v[86:89], v30, s[12:13] offset:176
	global_load_dwordx4 v[90:93], v30, s[12:13] offset:192
	global_load_dwordx4 v[94:97], v30, s[12:13] offset:208
	global_load_dwordx4 v[98:101], v30, s[12:13] offset:224
	global_load_dwordx4 v[102:105], v30, s[12:13]
	ds_read2st64_b64 v[106:109], v25 offset0:8 offset1:12
	ds_read2st64_b64 v[110:113], v25 offset0:16 offset1:20
	s_waitcnt vmcnt(14) lgkmcnt(1)
	v_mul_f64 v[30:31], v[106:107], v[7:8]
	v_mul_f64 v[62:63], v[9:10], v[7:8]
	s_waitcnt vmcnt(13)
	v_mul_f64 v[114:115], v[108:109], v[19:20]
	v_mul_f64 v[19:20], v[11:12], v[19:20]
	s_waitcnt vmcnt(12) lgkmcnt(0)
	v_mul_f64 v[116:117], v[110:111], v[23:24]
	v_mul_f64 v[23:24], v[13:14], v[23:24]
	s_waitcnt vmcnt(11)
	v_mul_f64 v[118:119], v[112:113], v[40:41]
	v_fma_f64 v[30:31], v[9:10], v[5:6], v[30:31]
	ds_read2st64_b64 v[7:10], v25 offset0:24 offset1:28
	v_fma_f64 v[62:63], v[106:107], v[5:6], -v[62:63]
	v_fma_f64 v[106:107], v[11:12], v[17:18], v[114:115]
	v_mul_f64 v[5:6], v[15:16], v[40:41]
	v_fma_f64 v[19:20], v[108:109], v[17:18], -v[19:20]
	s_waitcnt vmcnt(10) lgkmcnt(0)
	v_mul_f64 v[17:18], v[7:8], v[44:45]
	v_mul_f64 v[44:45], v[26:27], v[44:45]
	v_fma_f64 v[40:41], v[13:14], v[21:22], v[116:117]
	ds_read2st64_b64 v[11:14], v25 offset0:32 offset1:36
	v_fma_f64 v[21:22], v[110:111], v[21:22], -v[23:24]
	v_fma_f64 v[23:24], v[15:16], v[38:39], v[118:119]
	v_fma_f64 v[38:39], v[112:113], v[38:39], -v[5:6]
	s_waitcnt vmcnt(9)
	v_mul_f64 v[5:6], v[9:10], v[48:49]
	v_fma_f64 v[26:27], v[26:27], v[42:43], v[17:18]
	v_mul_f64 v[48:49], v[28:29], v[48:49]
	ds_read2st64_b64 v[15:18], v25 offset0:40 offset1:44
	v_fma_f64 v[42:43], v[7:8], v[42:43], -v[44:45]
	s_waitcnt vmcnt(7) lgkmcnt(1)
	v_mul_f64 v[7:8], v[13:14], v[72:73]
	v_mul_f64 v[108:109], v[11:12], v[56:57]
	;; [unrolled: 1-line block ×4, first 2 shown]
	s_waitcnt vmcnt(6) lgkmcnt(0)
	v_mul_f64 v[72:73], v[15:16], v[80:81]
	v_fma_f64 v[28:29], v[28:29], v[46:47], v[5:6]
	v_fma_f64 v[46:47], v[9:10], v[46:47], -v[48:49]
	v_mul_f64 v[9:10], v[50:51], v[80:81]
	v_fma_f64 v[36:37], v[36:37], v[70:71], v[7:8]
	ds_read2st64_b64 v[5:8], v25 offset0:48 offset1:52
	v_fma_f64 v[34:35], v[34:35], v[54:55], v[108:109]
	v_fma_f64 v[48:49], v[11:12], v[54:55], -v[56:57]
	v_fma_f64 v[13:14], v[13:14], v[70:71], -v[44:45]
	v_fma_f64 v[44:45], v[50:51], v[78:79], v[72:73]
	s_waitcnt vmcnt(5)
	v_mul_f64 v[50:51], v[17:18], v[84:85]
	v_mul_f64 v[54:55], v[52:53], v[84:85]
	s_waitcnt vmcnt(4) lgkmcnt(0)
	v_mul_f64 v[56:57], v[5:6], v[88:89]
	v_fma_f64 v[15:16], v[15:16], v[78:79], -v[9:10]
	v_mul_f64 v[70:71], v[58:59], v[88:89]
	ds_read2st64_b64 v[9:12], v25 offset0:56 offset1:60
	s_waitcnt vmcnt(3)
	v_mul_f64 v[78:79], v[60:61], v[92:93]
	v_mul_f64 v[72:73], v[7:8], v[92:93]
	v_fma_f64 v[50:51], v[52:53], v[82:83], v[50:51]
	v_fma_f64 v[17:18], v[17:18], v[82:83], -v[54:55]
	v_fma_f64 v[52:53], v[58:59], v[86:87], v[56:57]
	s_waitcnt vmcnt(2) lgkmcnt(0)
	v_mul_f64 v[54:55], v[9:10], v[96:97]
	v_mul_f64 v[56:57], v[74:75], v[96:97]
	v_fma_f64 v[58:59], v[5:6], v[86:87], -v[70:71]
	v_fma_f64 v[70:71], v[7:8], v[90:91], -v[78:79]
	ds_read2st64_b64 v[5:8], v25 offset1:4
	s_waitcnt vmcnt(1)
	v_mul_f64 v[78:79], v[76:77], v[100:101]
	v_fma_f64 v[60:61], v[60:61], v[90:91], v[72:73]
	v_mul_f64 v[72:73], v[11:12], v[100:101]
	v_fma_f64 v[54:55], v[74:75], v[94:95], v[54:55]
	v_fma_f64 v[9:10], v[9:10], v[94:95], -v[56:57]
	s_waitcnt vmcnt(0) lgkmcnt(0)
	v_mul_f64 v[56:57], v[7:8], v[104:105]
	v_mul_f64 v[74:75], v[3:4], v[104:105]
	v_add_f64 v[34:35], v[1:2], -v[34:35]
	v_add_f64 v[48:49], v[5:6], -v[48:49]
	v_fma_f64 v[11:12], v[11:12], v[98:99], -v[78:79]
	v_add_f64 v[52:53], v[40:41], -v[52:53]
	v_add_f64 v[58:59], v[21:22], -v[58:59]
	;; [unrolled: 1-line block ×3, first 2 shown]
	v_fma_f64 v[3:4], v[3:4], v[102:103], v[56:57]
	v_add_f64 v[15:16], v[62:63], -v[15:16]
	v_add_f64 v[54:55], v[26:27], -v[54:55]
	;; [unrolled: 1-line block ×3, first 2 shown]
	v_fma_f64 v[72:73], v[76:77], v[98:99], v[72:73]
	v_fma_f64 v[7:8], v[7:8], v[102:103], -v[74:75]
	v_fma_f64 v[40:41], v[40:41], 2.0, -v[52:53]
	v_fma_f64 v[21:22], v[21:22], 2.0, -v[58:59]
	v_add_f64 v[36:37], v[3:4], -v[36:37]
	v_fma_f64 v[56:57], v[62:63], 2.0, -v[15:16]
	v_add_f64 v[62:63], v[38:39], -v[70:71]
	v_fma_f64 v[26:27], v[26:27], 2.0, -v[54:55]
	v_fma_f64 v[42:43], v[42:43], 2.0, -v[9:10]
	v_add_f64 v[50:51], v[106:107], -v[50:51]
	v_add_f64 v[11:12], v[46:47], -v[11:12]
	v_add_f64 v[58:59], v[34:35], v[58:59]
	v_add_f64 v[52:53], v[48:49], -v[52:53]
	v_add_f64 v[9:10], v[44:45], v[9:10]
	v_add_f64 v[54:55], v[15:16], -v[54:55]
	v_fma_f64 v[1:2], v[1:2], 2.0, -v[34:35]
	v_fma_f64 v[5:6], v[5:6], 2.0, -v[48:49]
	v_add_f64 v[13:14], v[7:8], -v[13:14]
	v_fma_f64 v[30:31], v[30:31], 2.0, -v[44:45]
	v_add_f64 v[60:61], v[23:24], -v[60:61]
	v_add_f64 v[17:18], v[19:20], -v[17:18]
	v_fma_f64 v[38:39], v[38:39], 2.0, -v[62:63]
	v_add_f64 v[70:71], v[28:29], -v[72:73]
	v_fma_f64 v[46:47], v[46:47], 2.0, -v[11:12]
	v_fma_f64 v[34:35], v[34:35], 2.0, -v[58:59]
	;; [unrolled: 1-line block ×3, first 2 shown]
	v_add_f64 v[62:63], v[36:37], v[62:63]
	v_fma_f64 v[44:45], v[44:45], 2.0, -v[9:10]
	v_fma_f64 v[15:16], v[15:16], 2.0, -v[54:55]
	v_add_f64 v[11:12], v[50:51], v[11:12]
	v_fma_f64 v[3:4], v[3:4], 2.0, -v[36:37]
	v_fma_f64 v[23:24], v[23:24], 2.0, -v[60:61]
	;; [unrolled: 1-line block ×4, first 2 shown]
	v_add_f64 v[60:61], v[13:14], -v[60:61]
	v_fma_f64 v[36:37], v[36:37], 2.0, -v[62:63]
	v_add_f64 v[70:71], v[17:18], -v[70:71]
	v_fma_f64 v[74:75], v[44:45], s[4:5], v[34:35]
	v_fma_f64 v[76:77], v[15:16], s[4:5], v[48:49]
	v_fma_f64 v[50:51], v[50:51], 2.0, -v[11:12]
	v_fma_f64 v[7:8], v[7:8], 2.0, -v[13:14]
	;; [unrolled: 1-line block ×4, first 2 shown]
	v_fma_f64 v[78:79], v[9:10], s[0:1], v[58:59]
	v_fma_f64 v[17:18], v[17:18], 2.0, -v[70:71]
	v_fma_f64 v[15:16], v[15:16], s[0:1], v[74:75]
	v_fma_f64 v[44:45], v[44:45], s[4:5], v[76:77]
	;; [unrolled: 1-line block ×4, first 2 shown]
	v_add_f64 v[21:22], v[5:6], -v[21:22]
	v_add_f64 v[42:43], v[56:57], -v[42:43]
	;; [unrolled: 1-line block ×8, first 2 shown]
	v_fma_f64 v[54:55], v[54:55], s[0:1], v[78:79]
	v_fma_f64 v[78:79], v[17:18], s[4:5], v[13:14]
	;; [unrolled: 1-line block ×6, first 2 shown]
	v_fma_f64 v[5:6], v[5:6], 2.0, -v[21:22]
	v_fma_f64 v[56:57], v[56:57], 2.0, -v[42:43]
	;; [unrolled: 1-line block ×6, first 2 shown]
	v_add_f64 v[42:43], v[40:41], v[42:43]
	v_add_f64 v[26:27], v[21:22], -v[26:27]
	v_fma_f64 v[50:51], v[50:51], s[4:5], v[78:79]
	v_add_f64 v[46:47], v[23:24], v[46:47]
	v_add_f64 v[28:29], v[38:39], -v[28:29]
	v_fma_f64 v[70:71], v[70:71], s[0:1], v[74:75]
	v_fma_f64 v[11:12], v[11:12], s[4:5], v[76:77]
	v_add_f64 v[56:57], v[5:6], -v[56:57]
	v_fma_f64 v[34:35], v[34:35], 2.0, -v[15:16]
	v_fma_f64 v[36:37], v[36:37], 2.0, -v[17:18]
	v_add_f64 v[19:20], v[7:8], -v[19:20]
	v_fma_f64 v[1:2], v[1:2], 2.0, -v[40:41]
	v_fma_f64 v[3:4], v[3:4], 2.0, -v[23:24]
	;; [unrolled: 1-line block ×13, first 2 shown]
	v_fma_f64 v[74:75], v[36:37], s[14:15], v[34:35]
	v_fma_f64 v[7:8], v[7:8], 2.0, -v[19:20]
	v_fma_f64 v[76:77], v[13:14], s[14:15], v[48:49]
	v_fma_f64 v[78:79], v[23:24], s[4:5], v[40:41]
	;; [unrolled: 1-line block ×5, first 2 shown]
	v_add_f64 v[30:31], v[1:2], -v[30:31]
	v_fma_f64 v[13:14], v[13:14], s[6:7], v[74:75]
	v_add_f64 v[74:75], v[5:6], -v[7:8]
	v_add_f64 v[72:73], v[3:4], -v[72:73]
	v_fma_f64 v[36:37], v[36:37], s[8:9], v[76:77]
	v_fma_f64 v[7:8], v[38:39], s[0:1], v[78:79]
	;; [unrolled: 1-line block ×7, first 2 shown]
	v_fma_f64 v[78:79], v[5:6], 2.0, -v[74:75]
	v_fma_f64 v[5:6], v[46:47], s[0:1], v[42:43]
	v_fma_f64 v[1:2], v[1:2], 2.0, -v[30:31]
	v_fma_f64 v[3:4], v[3:4], 2.0, -v[72:73]
	v_add_f64 v[19:20], v[30:31], v[19:20]
	v_fma_f64 v[80:81], v[21:22], 2.0, -v[38:39]
	v_fma_f64 v[50:51], v[50:51], s[16:17], v[62:63]
	v_fma_f64 v[62:63], v[28:29], s[0:1], v[26:27]
	;; [unrolled: 1-line block ×6, first 2 shown]
	v_add_f64 v[3:4], v[1:2], -v[3:4]
	v_fma_f64 v[21:22], v[58:59], 2.0, -v[23:24]
	v_fma_f64 v[34:35], v[34:35], 2.0, -v[13:14]
	v_fma_f64 v[46:47], v[46:47], s[4:5], v[62:63]
	v_fma_f64 v[40:41], v[40:41], 2.0, -v[7:8]
	v_fma_f64 v[11:12], v[11:12], s[6:7], v[17:18]
	;; [unrolled: 2-line block ×3, first 2 shown]
	v_fma_f64 v[1:2], v[1:2], 2.0, -v[3:4]
	v_fma_f64 v[15:16], v[15:16], 2.0, -v[50:51]
	;; [unrolled: 1-line block ×4, first 2 shown]
	v_add_f64 v[72:73], v[56:57], -v[72:73]
	v_fma_f64 v[26:27], v[54:55], 2.0, -v[11:12]
	v_fma_f64 v[54:55], v[9:10], 2.0, -v[58:59]
	v_lshl_or_b32 v9, v0, 4, v0
	v_and_b32_e32 v9, 0xf0f, v9
	v_lshl_add_u32 v62, v9, 3, 0
	s_barrier
	ds_write2_b64 v62, v[1:2], v[34:35] offset1:16
	ds_write2_b64 v62, v[40:41], v[21:22] offset0:32 offset1:48
	ds_write2_b64 v62, v[17:18], v[15:16] offset0:64 offset1:80
	;; [unrolled: 1-line block ×7, first 2 shown]
	s_waitcnt lgkmcnt(0)
	s_barrier
	ds_read2st64_b64 v[1:4], v25 offset1:4
	ds_read2st64_b64 v[21:24], v25 offset0:8 offset1:12
	ds_read2st64_b64 v[13:16], v25 offset0:16 offset1:20
	ds_read2st64_b64 v[29:32], v25 offset0:24 offset1:28
	ds_read2st64_b64 v[5:8], v25 offset0:32 offset1:36
	ds_read2st64_b64 v[9:12], v25 offset0:40 offset1:44
	ds_read2st64_b64 v[17:20], v25 offset0:48 offset1:52
	ds_read2st64_b64 v[25:28], v25 offset0:56 offset1:60
	v_fma_f64 v[48:49], v[48:49], 2.0, -v[36:37]
	v_fma_f64 v[52:53], v[52:53], 2.0, -v[60:61]
	;; [unrolled: 1-line block ×4, first 2 shown]
	s_waitcnt lgkmcnt(0)
	s_barrier
	ds_write2_b64 v62, v[78:79], v[48:49] offset1:16
	ds_write2_b64 v62, v[80:81], v[52:53] offset0:32 offset1:48
	ds_write2_b64 v62, v[56:57], v[44:45] offset0:64 offset1:80
	;; [unrolled: 1-line block ×7, first 2 shown]
	s_waitcnt lgkmcnt(0)
	s_barrier
	s_and_saveexec_b64 s[20:21], vcc
	s_cbranch_execz .LBB0_15
; %bb.14:
	v_mul_u32_u24_e32 v34, 15, v0
	v_lshlrev_b32_e32 v62, 4, v34
	global_load_dwordx4 v[34:37], v62, s[12:13] offset:3920
	global_load_dwordx4 v[38:41], v62, s[12:13] offset:3936
	;; [unrolled: 1-line block ×15, first 2 shown]
	v_mul_i32_i24_e32 v0, 0xffffff88, v0
	v_add_u32_e32 v0, v33, v0
	ds_read2st64_b64 v[102:105], v0 offset0:8 offset1:12
	ds_read2st64_b64 v[106:109], v0 offset0:40 offset1:44
	;; [unrolled: 1-line block ×4, first 2 shown]
	v_mul_lo_u32 v64, s19, v67
	s_waitcnt vmcnt(14)
	v_mul_f64 v[62:63], v[29:30], v[34:35]
	v_mul_f64 v[118:119], v[29:30], v[36:37]
	s_waitcnt vmcnt(13)
	v_mul_f64 v[120:121], v[31:32], v[38:39]
	v_mul_f64 v[122:123], v[31:32], v[40:41]
	s_waitcnt vmcnt(12) lgkmcnt(1)
	v_mul_f64 v[124:125], v[44:45], v[110:111]
	v_mul_f64 v[44:45], v[25:26], v[44:45]
	ds_read2st64_b64 v[29:32], v0 offset1:4
	s_waitcnt lgkmcnt(1)
	v_fma_f64 v[62:63], v[114:115], v[36:37], v[62:63]
	v_fma_f64 v[114:115], v[114:115], v[34:35], -v[118:119]
	s_waitcnt vmcnt(11)
	v_mul_f64 v[118:119], v[48:49], v[112:113]
	v_fma_f64 v[120:121], v[116:117], v[40:41], v[120:121]
	v_fma_f64 v[116:117], v[116:117], v[38:39], -v[122:123]
	v_mul_f64 v[37:38], v[27:28], v[48:49]
	s_waitcnt vmcnt(10)
	v_mul_f64 v[48:49], v[21:22], v[52:53]
	v_fma_f64 v[122:123], v[25:26], v[42:43], v[124:125]
	v_fma_f64 v[41:42], v[42:43], v[110:111], -v[44:45]
	v_mul_f64 v[43:44], v[102:103], v[52:53]
	s_waitcnt vmcnt(9)
	v_mul_f64 v[110:111], v[23:24], v[56:57]
	v_fma_f64 v[52:53], v[27:28], v[46:47], v[118:119]
	v_mul_f64 v[56:57], v[104:105], v[56:57]
	v_fma_f64 v[45:46], v[46:47], v[112:113], -v[37:38]
	ds_read2st64_b64 v[37:40], v0 offset0:48 offset1:52
	s_waitcnt vmcnt(8)
	v_mul_f64 v[112:113], v[9:10], v[60:61]
	v_fma_f64 v[47:48], v[102:103], v[50:51], -v[48:49]
	v_fma_f64 v[21:22], v[21:22], v[50:51], v[43:44]
	s_waitcnt vmcnt(7)
	v_mul_f64 v[43:44], v[5:6], v[72:73]
	v_fma_f64 v[102:103], v[104:105], v[54:55], -v[110:111]
	v_mul_f64 v[60:61], v[106:107], v[60:61]
	s_waitcnt vmcnt(5) lgkmcnt(0)
	v_mul_f64 v[104:105], v[80:81], v[37:38]
	ds_read2st64_b64 v[33:36], v0 offset0:32 offset1:36
	v_mul_f64 v[49:50], v[13:14], v[74:75]
	v_fma_f64 v[23:24], v[23:24], v[54:55], v[56:57]
	s_waitcnt vmcnt(4)
	v_mul_f64 v[54:55], v[11:12], v[84:85]
	s_waitcnt vmcnt(3)
	v_mul_f64 v[56:57], v[3:4], v[88:89]
	;; [unrolled: 2-line block ×4, first 2 shown]
	v_fma_f64 v[106:107], v[106:107], v[58:59], -v[112:113]
	v_fma_f64 v[9:10], v[9:10], v[58:59], v[60:61]
	s_waitcnt vmcnt(0)
	v_mul_f64 v[58:59], v[100:101], v[39:40]
	v_mul_f64 v[60:61], v[108:109], v[84:85]
	;; [unrolled: 1-line block ×4, first 2 shown]
	v_fma_f64 v[100:101], v[17:18], v[78:79], v[104:105]
	v_mul_f64 v[17:18], v[17:18], v[80:81]
	s_waitcnt lgkmcnt(0)
	v_fma_f64 v[43:44], v[33:34], v[70:71], -v[43:44]
	v_mul_f64 v[33:34], v[33:34], v[72:73]
	ds_read2st64_b64 v[25:28], v0 offset0:16 offset1:20
	v_fma_f64 v[54:55], v[82:83], v[108:109], -v[54:55]
	v_mul_f64 v[15:16], v[15:16], v[96:97]
	v_mul_f64 v[88:89], v[31:32], v[88:89]
	v_fma_f64 v[19:20], v[19:20], v[98:99], v[58:59]
	v_mul_f64 v[58:59], v[35:36], v[92:93]
	v_fma_f64 v[35:36], v[35:36], v[90:91], -v[110:111]
	s_waitcnt lgkmcnt(0)
	v_fma_f64 v[49:50], v[25:26], v[76:77], v[49:50]
	v_fma_f64 v[31:32], v[31:32], v[86:87], -v[56:57]
	v_fma_f64 v[56:57], v[27:28], v[96:97], v[118:119]
	v_fma_f64 v[13:14], v[25:26], v[74:75], -v[13:14]
	v_fma_f64 v[17:18], v[78:79], v[37:38], -v[17:18]
	v_fma_f64 v[5:6], v[5:6], v[70:71], v[33:34]
	v_fma_f64 v[11:12], v[11:12], v[82:83], v[60:61]
	v_fma_f64 v[15:16], v[27:28], v[94:95], -v[15:16]
	v_fma_f64 v[27:28], v[98:99], v[39:40], -v[84:85]
	v_fma_f64 v[3:4], v[3:4], v[86:87], v[88:89]
	v_fma_f64 v[7:8], v[7:8], v[90:91], v[58:59]
	v_add_f64 v[25:26], v[47:48], -v[106:107]
	v_add_f64 v[33:34], v[62:63], -v[122:123]
	;; [unrolled: 1-line block ×18, first 2 shown]
	v_add_f64 v[60:61], v[9:10], v[41:42]
	v_add_f64 v[70:71], v[43:44], -v[51:52]
	v_add_f64 v[72:73], v[35:36], -v[19:20]
	v_add_f64 v[78:79], v[5:6], v[17:18]
	v_add_f64 v[74:75], v[11:12], v[45:46]
	v_add_f64 v[76:77], v[7:8], v[27:28]
	v_fma_f64 v[29:30], v[29:30], 2.0, -v[37:38]
	v_fma_f64 v[80:81], v[53:54], s[0:1], v[58:59]
	v_fma_f64 v[13:14], v[13:14], 2.0, -v[17:18]
	v_fma_f64 v[21:22], v[21:22], 2.0, -v[9:10]
	v_fma_f64 v[82:83], v[70:71], s[0:1], v[72:73]
	v_fma_f64 v[86:87], v[60:61], s[0:1], v[78:79]
	v_fma_f64 v[17:18], v[62:63], 2.0, -v[33:34]
	v_fma_f64 v[84:85], v[74:75], s[0:1], v[76:77]
	v_fma_f64 v[31:32], v[31:32], 2.0, -v[35:36]
	v_fma_f64 v[15:16], v[15:16], 2.0, -v[27:28]
	;; [unrolled: 1-line block ×4, first 2 shown]
	v_fma_f64 v[33:34], v[60:61], s[4:5], v[80:81]
	v_fma_f64 v[51:52], v[74:75], s[4:5], v[82:83]
	;; [unrolled: 1-line block ×3, first 2 shown]
	v_add_f64 v[82:83], v[29:30], -v[13:14]
	v_fma_f64 v[86:87], v[102:103], 2.0, -v[43:44]
	v_fma_f64 v[13:14], v[116:117], 2.0, -v[45:46]
	;; [unrolled: 1-line block ×4, first 2 shown]
	v_fma_f64 v[62:63], v[70:71], s[0:1], v[84:85]
	v_add_f64 v[84:85], v[21:22], -v[17:18]
	v_add_f64 v[16:17], v[31:32], -v[15:16]
	v_add_f64 v[27:28], v[23:24], -v[27:28]
	v_fma_f64 v[47:48], v[47:48], 2.0, -v[25:26]
	v_add_f64 v[92:93], v[86:87], -v[13:14]
	v_fma_f64 v[37:38], v[37:38], 2.0, -v[58:59]
	v_add_f64 v[94:95], v[45:46], -v[3:4]
	v_fma_f64 v[3:4], v[114:115], 2.0, -v[41:42]
	v_fma_f64 v[41:42], v[1:2], 2.0, -v[5:6]
	;; [unrolled: 1-line block ×6, first 2 shown]
	v_fma_f64 v[55:56], v[62:63], s[16:17], v[80:81]
	v_add_f64 v[88:89], v[82:83], -v[84:85]
	v_add_f64 v[90:91], v[16:17], -v[27:28]
	v_fma_f64 v[9:10], v[9:10], 2.0, -v[60:61]
	v_fma_f64 v[11:12], v[11:12], 2.0, -v[74:75]
	;; [unrolled: 1-line block ×3, first 2 shown]
	v_add_f64 v[53:54], v[47:48], -v[3:4]
	v_add_f64 v[60:61], v[41:42], -v[0:1]
	v_fma_f64 v[70:71], v[13:14], s[4:5], v[37:38]
	v_fma_f64 v[74:75], v[25:26], s[4:5], v[35:36]
	v_fma_f64 v[43:44], v[5:6], 2.0, -v[78:79]
	v_fma_f64 v[18:19], v[51:52], s[16:17], v[33:34]
	v_fma_f64 v[5:6], v[90:91], s[0:1], v[88:89]
	v_add_f64 v[49:50], v[92:93], v[94:95]
	v_fma_f64 v[96:97], v[11:12], s[4:5], v[39:40]
	v_fma_f64 v[0:1], v[51:52], s[6:7], v[55:56]
	v_add_f64 v[55:56], v[53:54], v[60:61]
	v_fma_f64 v[70:71], v[9:10], s[4:5], v[70:71]
	v_fma_f64 v[74:75], v[11:12], s[4:5], v[74:75]
	v_mul_lo_u32 v100, s18, v68
	v_mad_u64_u32 v[67:68], s[12:13], s18, v67, 0
	v_fma_f64 v[98:99], v[9:10], s[4:5], v[43:44]
	v_fma_f64 v[2:3], v[62:63], s[8:9], v[18:19]
	;; [unrolled: 1-line block ×4, first 2 shown]
	v_add3_u32 v68, v68, v100, v64
	v_fma_f64 v[4:5], v[49:50], s[0:1], v[55:56]
	v_fma_f64 v[8:9], v[74:75], s[6:7], v[70:71]
	v_fma_f64 v[100:101], v[29:30], 2.0, -v[82:83]
	v_fma_f64 v[29:30], v[47:48], 2.0, -v[53:54]
	;; [unrolled: 1-line block ×8, first 2 shown]
	v_fma_f64 v[98:99], v[13:14], s[0:1], v[98:99]
	v_fma_f64 v[45:46], v[45:46], 2.0, -v[94:95]
	v_fma_f64 v[20:21], v[21:22], 2.0, -v[84:85]
	v_fma_f64 v[14:15], v[33:34], 2.0, -v[2:3]
	v_fma_f64 v[4:5], v[90:91], s[0:1], v[4:5]
	v_fma_f64 v[10:11], v[96:97], s[14:15], v[8:9]
	v_add_f64 v[57:58], v[100:101], -v[29:30]
	v_add_f64 v[86:87], v[53:54], -v[27:28]
	v_fma_f64 v[28:29], v[51:52], s[8:9], v[41:42]
	v_fma_f64 v[32:33], v[76:77], 2.0, -v[62:63]
	v_fma_f64 v[62:63], v[78:79], 2.0, -v[80:81]
	;; [unrolled: 1-line block ×4, first 2 shown]
	v_fma_f64 v[25:26], v[96:97], s[6:7], v[98:99]
	v_add_f64 v[72:73], v[45:46], -v[23:24]
	v_add_f64 v[84:85], v[47:48], -v[20:21]
	v_fma_f64 v[12:13], v[80:81], 2.0, -v[0:1]
	v_fma_f64 v[16:17], v[55:56], 2.0, -v[4:5]
	;; [unrolled: 1-line block ×3, first 2 shown]
	v_fma_f64 v[30:31], v[32:33], s[14:15], v[28:29]
	v_fma_f64 v[80:81], v[78:79], s[4:5], v[76:77]
	v_fma_f64 v[49:50], v[94:95], 2.0, -v[49:50]
	v_fma_f64 v[59:60], v[60:61], 2.0, -v[55:56]
	;; [unrolled: 1-line block ×4, first 2 shown]
	v_fma_f64 v[8:9], v[74:75], s[16:17], v[25:26]
	v_add_f64 v[26:27], v[57:58], -v[72:73]
	v_add_f64 v[24:25], v[84:85], v[86:87]
	v_fma_f64 v[28:29], v[32:33], s[8:9], v[62:63]
	v_fma_f64 v[74:75], v[39:40], 2.0, -v[96:97]
	v_fma_f64 v[82:83], v[43:44], 2.0, -v[98:99]
	;; [unrolled: 1-line block ×3, first 2 shown]
	v_fma_f64 v[42:43], v[49:50], s[4:5], v[80:81]
	v_fma_f64 v[40:41], v[49:50], s[4:5], v[59:60]
	;; [unrolled: 1-line block ×3, first 2 shown]
	v_fma_f64 v[18:19], v[88:89], 2.0, -v[6:7]
	v_fma_f64 v[34:35], v[57:58], 2.0, -v[26:27]
	v_fma_f64 v[32:33], v[84:85], 2.0, -v[24:25]
	v_fma_f64 v[28:29], v[51:52], s[16:17], v[28:29]
	v_fma_f64 v[80:81], v[74:75], s[14:15], v[82:83]
	v_fma_f64 v[88:89], v[100:101], 2.0, -v[57:58]
	v_fma_f64 v[52:53], v[53:54], 2.0, -v[86:87]
	v_fma_f64 v[84:85], v[47:48], 2.0, -v[84:85]
	v_fma_f64 v[57:58], v[45:46], 2.0, -v[72:73]
	v_fma_f64 v[40:41], v[78:79], s[0:1], v[40:41]
	v_fma_f64 v[46:47], v[74:75], s[8:9], v[49:50]
	v_mad_u64_u32 v[72:73], s[0:1], s2, v69, 0
	v_fma_f64 v[44:45], v[55:56], s[6:7], v[80:81]
	v_add_f64 v[54:55], v[88:89], -v[52:53]
	v_mov_b32_e32 v56, v73
	v_add_f64 v[52:53], v[84:85], -v[57:58]
	v_fma_f64 v[48:49], v[59:60], 2.0, -v[40:41]
	v_fma_f64 v[58:59], v[70:71], 2.0, -v[46:47]
	v_mad_u64_u32 v[70:71], s[0:1], s3, v69, v[56:57]
	v_lshlrev_b64 v[67:68], 4, v[67:68]
	v_fma_f64 v[36:37], v[62:63], 2.0, -v[28:29]
	v_fma_f64 v[62:63], v[88:89], 2.0, -v[54:55]
	;; [unrolled: 1-line block ×3, first 2 shown]
	v_mov_b32_e32 v73, v70
	v_mov_b32_e32 v64, s11
	v_add_co_u32_e32 v70, vcc, s10, v67
	v_addc_co_u32_e32 v68, vcc, v64, v68, vcc
	v_lshlrev_b64 v[64:65], 4, v[65:66]
	v_or_b32_e32 v71, 0x100, v69
	v_add_co_u32_e32 v70, vcc, v70, v64
	v_addc_co_u32_e32 v74, vcc, v68, v65, vcc
	v_lshlrev_b64 v[64:65], 4, v[72:73]
	v_mad_u64_u32 v[66:67], s[0:1], s2, v71, 0
	v_add_co_u32_e32 v64, vcc, v70, v64
	v_addc_co_u32_e32 v65, vcc, v74, v65, vcc
	global_store_dwordx4 v[64:65], v[60:63], off
	v_or_b32_e32 v64, 0x200, v69
	v_fma_f64 v[56:57], v[82:83], 2.0, -v[44:45]
	v_mad_u64_u32 v[67:68], s[0:1], s3, v71, v[67:68]
	v_mad_u64_u32 v[62:63], s[0:1], s2, v64, 0
	v_fma_f64 v[50:51], v[76:77], 2.0, -v[42:43]
	v_lshlrev_b64 v[60:61], 4, v[66:67]
	v_mad_u64_u32 v[63:64], s[0:1], s3, v64, v[63:64]
	v_add_co_u32_e32 v60, vcc, v70, v60
	v_addc_co_u32_e32 v61, vcc, v74, v61, vcc
	v_or_b32_e32 v66, 0x300, v69
	v_mad_u64_u32 v[64:65], s[0:1], s2, v66, 0
	global_store_dwordx4 v[60:61], v[56:59], off
	v_fma_f64 v[20:21], v[98:99], 2.0, -v[8:9]
	v_lshlrev_b64 v[56:57], 4, v[62:63]
	v_mov_b32_e32 v58, v65
	v_add_co_u32_e32 v56, vcc, v70, v56
	v_addc_co_u32_e32 v57, vcc, v74, v57, vcc
	global_store_dwordx4 v[56:57], v[48:51], off
	v_or_b32_e32 v56, 0x400, v69
	v_mad_u64_u32 v[58:59], s[0:1], s3, v66, v[58:59]
	v_mad_u64_u32 v[50:51], s[0:1], s2, v56, 0
	v_mov_b32_e32 v65, v58
	v_lshlrev_b64 v[48:49], 4, v[64:65]
	v_mad_u64_u32 v[56:57], s[0:1], s3, v56, v[51:52]
	v_add_co_u32_e32 v48, vcc, v70, v48
	v_or_b32_e32 v59, 0x500, v69
	v_addc_co_u32_e32 v49, vcc, v74, v49, vcc
	v_mad_u64_u32 v[57:58], s[0:1], s2, v59, 0
	v_mov_b32_e32 v51, v56
	global_store_dwordx4 v[48:49], v[36:39], off
	s_nop 0
	v_lshlrev_b64 v[36:37], 4, v[50:51]
	v_mov_b32_e32 v38, v58
	v_add_co_u32_e32 v36, vcc, v70, v36
	v_addc_co_u32_e32 v37, vcc, v74, v37, vcc
	v_mad_u64_u32 v[38:39], s[0:1], s3, v59, v[38:39]
	global_store_dwordx4 v[36:37], v[32:35], off
	v_or_b32_e32 v36, 0x600, v69
	v_mad_u64_u32 v[34:35], s[0:1], s2, v36, 0
	v_mov_b32_e32 v58, v38
	v_lshlrev_b64 v[32:33], 4, v[57:58]
	v_mad_u64_u32 v[35:36], s[0:1], s3, v36, v[35:36]
	v_add_co_u32_e32 v32, vcc, v70, v32
	v_addc_co_u32_e32 v33, vcc, v74, v33, vcc
	v_or_b32_e32 v38, 0x700, v69
	v_mad_u64_u32 v[36:37], s[0:1], s2, v38, 0
	global_store_dwordx4 v[32:33], v[20:23], off
	s_nop 0
	v_lshlrev_b64 v[20:21], 4, v[34:35]
	v_mov_b32_e32 v22, v37
	v_add_co_u32_e32 v20, vcc, v70, v20
	v_addc_co_u32_e32 v21, vcc, v74, v21, vcc
	global_store_dwordx4 v[20:21], v[16:19], off
	v_or_b32_e32 v20, 0x800, v69
	v_mad_u64_u32 v[22:23], s[0:1], s3, v38, v[22:23]
	v_mad_u64_u32 v[18:19], s[0:1], s2, v20, 0
	v_mov_b32_e32 v37, v22
	v_or_b32_e32 v22, 0x900, v69
	v_mad_u64_u32 v[19:20], s[0:1], s3, v20, v[19:20]
	v_lshlrev_b64 v[16:17], 4, v[36:37]
	v_mad_u64_u32 v[20:21], s[0:1], s2, v22, 0
	v_add_co_u32_e32 v16, vcc, v70, v16
	v_addc_co_u32_e32 v17, vcc, v74, v17, vcc
	global_store_dwordx4 v[16:17], v[12:15], off
	v_or_b32_e32 v16, 0xa00, v69
	v_mov_b32_e32 v14, v21
	v_mad_u64_u32 v[14:15], s[0:1], s3, v22, v[14:15]
	v_lshlrev_b64 v[12:13], 4, v[18:19]
	v_or_b32_e32 v18, 0xb00, v69
	v_mov_b32_e32 v21, v14
	v_mad_u64_u32 v[14:15], s[0:1], s2, v16, 0
	v_add_co_u32_e32 v12, vcc, v70, v12
	v_addc_co_u32_e32 v13, vcc, v74, v13, vcc
	v_mad_u64_u32 v[15:16], s[0:1], s3, v16, v[15:16]
	global_store_dwordx4 v[12:13], v[52:55], off
	v_lshlrev_b64 v[12:13], 4, v[20:21]
	v_mad_u64_u32 v[16:17], s[0:1], s2, v18, 0
	v_add_co_u32_e32 v12, vcc, v70, v12
	v_addc_co_u32_e32 v13, vcc, v74, v13, vcc
	global_store_dwordx4 v[12:13], v[44:47], off
	v_lshlrev_b64 v[12:13], 4, v[14:15]
	v_mov_b32_e32 v14, v17
	v_mad_u64_u32 v[14:15], s[0:1], s3, v18, v[14:15]
	v_add_co_u32_e32 v12, vcc, v70, v12
	v_addc_co_u32_e32 v13, vcc, v74, v13, vcc
	v_mov_b32_e32 v17, v14
	global_store_dwordx4 v[12:13], v[40:43], off
	v_lshlrev_b64 v[12:13], 4, v[16:17]
	v_or_b32_e32 v16, 0xc00, v69
	v_mad_u64_u32 v[14:15], s[0:1], s2, v16, 0
	v_or_b32_e32 v18, 0xd00, v69
	v_add_co_u32_e32 v12, vcc, v70, v12
	v_mad_u64_u32 v[15:16], s[0:1], s3, v16, v[15:16]
	v_mad_u64_u32 v[16:17], s[0:1], s2, v18, 0
	v_addc_co_u32_e32 v13, vcc, v74, v13, vcc
	global_store_dwordx4 v[12:13], v[28:31], off
	v_lshlrev_b64 v[12:13], 4, v[14:15]
	v_mov_b32_e32 v14, v17
	v_mad_u64_u32 v[14:15], s[0:1], s3, v18, v[14:15]
	v_add_co_u32_e32 v12, vcc, v70, v12
	v_addc_co_u32_e32 v13, vcc, v74, v13, vcc
	v_mov_b32_e32 v17, v14
	global_store_dwordx4 v[12:13], v[24:27], off
	v_lshlrev_b64 v[12:13], 4, v[16:17]
	v_or_b32_e32 v16, 0xe00, v69
	v_mad_u64_u32 v[14:15], s[0:1], s2, v16, 0
	v_or_b32_e32 v18, 0xf00, v69
	v_add_co_u32_e32 v12, vcc, v70, v12
	v_mad_u64_u32 v[15:16], s[0:1], s3, v16, v[15:16]
	v_mad_u64_u32 v[16:17], s[0:1], s2, v18, 0
	v_addc_co_u32_e32 v13, vcc, v74, v13, vcc
	global_store_dwordx4 v[12:13], v[8:11], off
	s_nop 0
	v_mov_b32_e32 v10, v17
	v_mad_u64_u32 v[10:11], s[0:1], s3, v18, v[10:11]
	v_lshlrev_b64 v[8:9], 4, v[14:15]
	v_add_co_u32_e32 v8, vcc, v70, v8
	v_addc_co_u32_e32 v9, vcc, v74, v9, vcc
	v_mov_b32_e32 v17, v10
	global_store_dwordx4 v[8:9], v[4:7], off
	s_nop 0
	v_lshlrev_b64 v[4:5], 4, v[16:17]
	v_add_co_u32_e32 v4, vcc, v70, v4
	v_addc_co_u32_e32 v5, vcc, v74, v5, vcc
	global_store_dwordx4 v[4:5], v[0:3], off
.LBB0_15:
	s_endpgm
	.section	.rodata,"a",@progbits
	.p2align	6, 0x0
	.amdhsa_kernel fft_rtc_back_len4096_factors_16_16_16_wgs_256_tpt_256_halfLds_dp_op_CI_CI_sbrr_dirReg
		.amdhsa_group_segment_fixed_size 0
		.amdhsa_private_segment_fixed_size 0
		.amdhsa_kernarg_size 104
		.amdhsa_user_sgpr_count 6
		.amdhsa_user_sgpr_private_segment_buffer 1
		.amdhsa_user_sgpr_dispatch_ptr 0
		.amdhsa_user_sgpr_queue_ptr 0
		.amdhsa_user_sgpr_kernarg_segment_ptr 1
		.amdhsa_user_sgpr_dispatch_id 0
		.amdhsa_user_sgpr_flat_scratch_init 0
		.amdhsa_user_sgpr_private_segment_size 0
		.amdhsa_uses_dynamic_stack 0
		.amdhsa_system_sgpr_private_segment_wavefront_offset 0
		.amdhsa_system_sgpr_workgroup_id_x 1
		.amdhsa_system_sgpr_workgroup_id_y 0
		.amdhsa_system_sgpr_workgroup_id_z 0
		.amdhsa_system_sgpr_workgroup_info 0
		.amdhsa_system_vgpr_workitem_id 0
		.amdhsa_next_free_vgpr 126
		.amdhsa_next_free_sgpr 32
		.amdhsa_reserve_vcc 1
		.amdhsa_reserve_flat_scratch 0
		.amdhsa_float_round_mode_32 0
		.amdhsa_float_round_mode_16_64 0
		.amdhsa_float_denorm_mode_32 3
		.amdhsa_float_denorm_mode_16_64 3
		.amdhsa_dx10_clamp 1
		.amdhsa_ieee_mode 1
		.amdhsa_fp16_overflow 0
		.amdhsa_exception_fp_ieee_invalid_op 0
		.amdhsa_exception_fp_denorm_src 0
		.amdhsa_exception_fp_ieee_div_zero 0
		.amdhsa_exception_fp_ieee_overflow 0
		.amdhsa_exception_fp_ieee_underflow 0
		.amdhsa_exception_fp_ieee_inexact 0
		.amdhsa_exception_int_div_zero 0
	.end_amdhsa_kernel
	.text
.Lfunc_end0:
	.size	fft_rtc_back_len4096_factors_16_16_16_wgs_256_tpt_256_halfLds_dp_op_CI_CI_sbrr_dirReg, .Lfunc_end0-fft_rtc_back_len4096_factors_16_16_16_wgs_256_tpt_256_halfLds_dp_op_CI_CI_sbrr_dirReg
                                        ; -- End function
	.section	.AMDGPU.csdata,"",@progbits
; Kernel info:
; codeLenInByte = 8796
; NumSgprs: 36
; NumVgprs: 126
; ScratchSize: 0
; MemoryBound: 1
; FloatMode: 240
; IeeeMode: 1
; LDSByteSize: 0 bytes/workgroup (compile time only)
; SGPRBlocks: 4
; VGPRBlocks: 31
; NumSGPRsForWavesPerEU: 36
; NumVGPRsForWavesPerEU: 126
; Occupancy: 2
; WaveLimiterHint : 1
; COMPUTE_PGM_RSRC2:SCRATCH_EN: 0
; COMPUTE_PGM_RSRC2:USER_SGPR: 6
; COMPUTE_PGM_RSRC2:TRAP_HANDLER: 0
; COMPUTE_PGM_RSRC2:TGID_X_EN: 1
; COMPUTE_PGM_RSRC2:TGID_Y_EN: 0
; COMPUTE_PGM_RSRC2:TGID_Z_EN: 0
; COMPUTE_PGM_RSRC2:TIDIG_COMP_CNT: 0
	.type	__hip_cuid_75e788fe9e17d07b,@object ; @__hip_cuid_75e788fe9e17d07b
	.section	.bss,"aw",@nobits
	.globl	__hip_cuid_75e788fe9e17d07b
__hip_cuid_75e788fe9e17d07b:
	.byte	0                               ; 0x0
	.size	__hip_cuid_75e788fe9e17d07b, 1

	.ident	"AMD clang version 19.0.0git (https://github.com/RadeonOpenCompute/llvm-project roc-6.4.0 25133 c7fe45cf4b819c5991fe208aaa96edf142730f1d)"
	.section	".note.GNU-stack","",@progbits
	.addrsig
	.addrsig_sym __hip_cuid_75e788fe9e17d07b
	.amdgpu_metadata
---
amdhsa.kernels:
  - .args:
      - .actual_access:  read_only
        .address_space:  global
        .offset:         0
        .size:           8
        .value_kind:     global_buffer
      - .offset:         8
        .size:           8
        .value_kind:     by_value
      - .actual_access:  read_only
        .address_space:  global
        .offset:         16
        .size:           8
        .value_kind:     global_buffer
      - .actual_access:  read_only
        .address_space:  global
        .offset:         24
        .size:           8
        .value_kind:     global_buffer
      - .actual_access:  read_only
        .address_space:  global
        .offset:         32
        .size:           8
        .value_kind:     global_buffer
      - .offset:         40
        .size:           8
        .value_kind:     by_value
      - .actual_access:  read_only
        .address_space:  global
        .offset:         48
        .size:           8
        .value_kind:     global_buffer
      - .actual_access:  read_only
        .address_space:  global
        .offset:         56
        .size:           8
        .value_kind:     global_buffer
      - .offset:         64
        .size:           4
        .value_kind:     by_value
      - .actual_access:  read_only
        .address_space:  global
        .offset:         72
        .size:           8
        .value_kind:     global_buffer
      - .actual_access:  read_only
        .address_space:  global
        .offset:         80
        .size:           8
        .value_kind:     global_buffer
      - .actual_access:  read_only
        .address_space:  global
        .offset:         88
        .size:           8
        .value_kind:     global_buffer
      - .actual_access:  write_only
        .address_space:  global
        .offset:         96
        .size:           8
        .value_kind:     global_buffer
    .group_segment_fixed_size: 0
    .kernarg_segment_align: 8
    .kernarg_segment_size: 104
    .language:       OpenCL C
    .language_version:
      - 2
      - 0
    .max_flat_workgroup_size: 256
    .name:           fft_rtc_back_len4096_factors_16_16_16_wgs_256_tpt_256_halfLds_dp_op_CI_CI_sbrr_dirReg
    .private_segment_fixed_size: 0
    .sgpr_count:     36
    .sgpr_spill_count: 0
    .symbol:         fft_rtc_back_len4096_factors_16_16_16_wgs_256_tpt_256_halfLds_dp_op_CI_CI_sbrr_dirReg.kd
    .uniform_work_group_size: 1
    .uses_dynamic_stack: false
    .vgpr_count:     126
    .vgpr_spill_count: 0
    .wavefront_size: 64
amdhsa.target:   amdgcn-amd-amdhsa--gfx906
amdhsa.version:
  - 1
  - 2
...

	.end_amdgpu_metadata
